;; amdgpu-corpus repo=ROCm/rocSPARSE kind=compiled arch=gfx906 opt=O3
	.amdgcn_target "amdgcn-amd-amdhsa--gfx906"
	.amdhsa_code_object_version 6
	.section	.text._ZN9rocsparseL13gemmit_kernelILj256EfEEviiNS_24const_host_device_scalarIT0_EEPKS2_iPKiS7_S5_S3_PS2_i21rocsparse_index_base_b,"axG",@progbits,_ZN9rocsparseL13gemmit_kernelILj256EfEEviiNS_24const_host_device_scalarIT0_EEPKS2_iPKiS7_S5_S3_PS2_i21rocsparse_index_base_b,comdat
	.globl	_ZN9rocsparseL13gemmit_kernelILj256EfEEviiNS_24const_host_device_scalarIT0_EEPKS2_iPKiS7_S5_S3_PS2_i21rocsparse_index_base_b ; -- Begin function _ZN9rocsparseL13gemmit_kernelILj256EfEEviiNS_24const_host_device_scalarIT0_EEPKS2_iPKiS7_S5_S3_PS2_i21rocsparse_index_base_b
	.p2align	8
	.type	_ZN9rocsparseL13gemmit_kernelILj256EfEEviiNS_24const_host_device_scalarIT0_EEPKS2_iPKiS7_S5_S3_PS2_i21rocsparse_index_base_b,@function
_ZN9rocsparseL13gemmit_kernelILj256EfEEviiNS_24const_host_device_scalarIT0_EEPKS2_iPKiS7_S5_S3_PS2_i21rocsparse_index_base_b: ; @_ZN9rocsparseL13gemmit_kernelILj256EfEEviiNS_24const_host_device_scalarIT0_EEPKS2_iPKiS7_S5_S3_PS2_i21rocsparse_index_base_b
; %bb.0:
	s_load_dwordx4 s[0:3], s[4:5], 0x48
	s_load_dwordx2 s[12:13], s[4:5], 0x8
	s_load_dwordx2 s[14:15], s[4:5], 0x38
	s_waitcnt lgkmcnt(0)
	s_bitcmp1_b32 s2, 0
	s_cselect_b64 s[8:9], -1, 0
	s_xor_b64 s[2:3], s[8:9], -1
	s_and_b64 vcc, exec, s[8:9]
	s_cbranch_vccnz .LBB0_2
; %bb.1:
	s_load_dword s12, s[12:13], 0x0
.LBB0_2:
	s_andn2_b64 vcc, exec, s[2:3]
	s_cbranch_vccnz .LBB0_4
; %bb.3:
	s_load_dword s14, s[14:15], 0x0
.LBB0_4:
	s_nop 0
	s_load_dwordx2 s[2:3], s[4:5], 0x0
	v_lshl_or_b32 v0, s6, 8, v0
	s_waitcnt lgkmcnt(0)
	s_cmp_gt_i32 s3, 0
	v_cmp_gt_i32_e32 vcc, s2, v0
	s_cselect_b64 s[8:9], -1, 0
	s_and_b64 s[8:9], vcc, s[8:9]
	s_and_saveexec_b64 s[10:11], s[8:9]
	s_cbranch_execz .LBB0_15
; %bb.5:
	v_ashrrev_i32_e32 v1, 31, v0
	s_load_dwordx2 s[18:19], s[4:5], 0x10
	s_load_dwordx4 s[8:11], s[4:5], 0x20
	s_load_dwordx2 s[16:17], s[4:5], 0x30
	s_load_dwordx2 s[20:21], s[4:5], 0x40
	s_load_dword s2, s[4:5], 0x18
	v_lshlrev_b64 v[2:3], 2, v[0:1]
	s_waitcnt lgkmcnt(0)
	v_mov_b32_e32 v1, s19
	v_add_co_u32_e32 v0, vcc, s18, v2
	v_addc_co_u32_e32 v1, vcc, v1, v3, vcc
	v_mov_b32_e32 v4, s21
	v_add_co_u32_e32 v2, vcc, s20, v2
	s_mov_b32 s6, 0
	v_cmp_eq_f32_e64 s[4:5], s14, 0
	v_addc_co_u32_e32 v3, vcc, v4, v3, vcc
	s_branch .LBB0_7
.LBB0_6:                                ;   in Loop: Header=BB0_7 Depth=1
	s_add_i32 s6, s6, 0xffff
	s_cmp_lt_i32 s6, s3
	s_cbranch_scc0 .LBB0_15
.LBB0_7:                                ; =>This Loop Header: Depth=1
                                        ;     Child Loop BB0_10 Depth 2
	s_add_i32 s18, s6, s7
	s_cmp_ge_i32 s18, s3
	s_cbranch_scc1 .LBB0_6
; %bb.8:                                ;   in Loop: Header=BB0_7 Depth=1
	s_ashr_i32 s19, s18, 31
	s_lshl_b64 s[20:21], s[18:19], 2
	s_add_u32 s22, s8, s20
	s_addc_u32 s23, s9, s21
	s_load_dwordx2 s[20:21], s[22:23], 0x0
	v_mov_b32_e32 v4, 0
	s_waitcnt lgkmcnt(0)
	s_cmp_ge_i32 s20, s21
	s_cbranch_scc1 .LBB0_11
; %bb.9:                                ;   in Loop: Header=BB0_7 Depth=1
	s_sub_i32 s20, s20, s1
	s_sub_i32 s13, s21, s1
	s_ashr_i32 s21, s20, 31
	s_lshl_b64 s[24:25], s[20:21], 2
	s_add_u32 s22, s10, s24
	s_addc_u32 s23, s11, s25
	s_add_u32 s24, s16, s24
	s_addc_u32 s25, s17, s25
	v_mov_b32_e32 v4, 0
.LBB0_10:                               ;   Parent Loop BB0_7 Depth=1
                                        ; =>  This Inner Loop Header: Depth=2
	s_load_dword s15, s[22:23], 0x0
	s_add_i32 s20, s20, 1
	s_waitcnt lgkmcnt(0)
	s_sub_i32 s15, s15, s1
	s_mul_hi_i32 s27, s15, s2
	s_mul_i32 s26, s15, s2
	s_lshl_b64 s[26:27], s[26:27], 2
	v_mov_b32_e32 v6, s27
	v_add_co_u32_e32 v5, vcc, s26, v0
	v_addc_co_u32_e32 v6, vcc, v1, v6, vcc
	global_load_dword v5, v[5:6], off
	s_load_dword s15, s[24:25], 0x0
	s_add_u32 s22, s22, 4
	s_addc_u32 s23, s23, 0
	s_add_u32 s24, s24, 4
	s_addc_u32 s25, s25, 0
	s_cmp_ge_i32 s20, s13
	s_waitcnt vmcnt(0) lgkmcnt(0)
	v_fmac_f32_e32 v4, s15, v5
	s_cbranch_scc0 .LBB0_10
.LBB0_11:                               ;   in Loop: Header=BB0_7 Depth=1
	s_and_b64 vcc, exec, s[4:5]
	v_mul_f32_e32 v4, s12, v4
	s_mul_hi_i32 s19, s18, s0
	s_mul_i32 s18, s18, s0
	s_cbranch_vccz .LBB0_13
; %bb.12:                               ;   in Loop: Header=BB0_7 Depth=1
	s_lshl_b64 s[20:21], s[18:19], 2
	v_mov_b32_e32 v6, s21
	v_add_co_u32_e32 v5, vcc, s20, v2
	v_addc_co_u32_e32 v6, vcc, v3, v6, vcc
	global_store_dword v[5:6], v4, off
	s_cbranch_execnz .LBB0_6
	s_branch .LBB0_14
.LBB0_13:                               ;   in Loop: Header=BB0_7 Depth=1
.LBB0_14:                               ;   in Loop: Header=BB0_7 Depth=1
	s_lshl_b64 s[18:19], s[18:19], 2
	v_mov_b32_e32 v6, s19
	v_add_co_u32_e32 v5, vcc, s18, v2
	v_addc_co_u32_e32 v6, vcc, v3, v6, vcc
	global_load_dword v7, v[5:6], off
	s_waitcnt vmcnt(0)
	v_fmac_f32_e32 v4, s14, v7
	global_store_dword v[5:6], v4, off
	s_branch .LBB0_6
.LBB0_15:
	s_endpgm
	.section	.rodata,"a",@progbits
	.p2align	6, 0x0
	.amdhsa_kernel _ZN9rocsparseL13gemmit_kernelILj256EfEEviiNS_24const_host_device_scalarIT0_EEPKS2_iPKiS7_S5_S3_PS2_i21rocsparse_index_base_b
		.amdhsa_group_segment_fixed_size 0
		.amdhsa_private_segment_fixed_size 0
		.amdhsa_kernarg_size 84
		.amdhsa_user_sgpr_count 6
		.amdhsa_user_sgpr_private_segment_buffer 1
		.amdhsa_user_sgpr_dispatch_ptr 0
		.amdhsa_user_sgpr_queue_ptr 0
		.amdhsa_user_sgpr_kernarg_segment_ptr 1
		.amdhsa_user_sgpr_dispatch_id 0
		.amdhsa_user_sgpr_flat_scratch_init 0
		.amdhsa_user_sgpr_private_segment_size 0
		.amdhsa_uses_dynamic_stack 0
		.amdhsa_system_sgpr_private_segment_wavefront_offset 0
		.amdhsa_system_sgpr_workgroup_id_x 1
		.amdhsa_system_sgpr_workgroup_id_y 1
		.amdhsa_system_sgpr_workgroup_id_z 0
		.amdhsa_system_sgpr_workgroup_info 0
		.amdhsa_system_vgpr_workitem_id 0
		.amdhsa_next_free_vgpr 8
		.amdhsa_next_free_sgpr 28
		.amdhsa_reserve_vcc 1
		.amdhsa_reserve_flat_scratch 0
		.amdhsa_float_round_mode_32 0
		.amdhsa_float_round_mode_16_64 0
		.amdhsa_float_denorm_mode_32 3
		.amdhsa_float_denorm_mode_16_64 3
		.amdhsa_dx10_clamp 1
		.amdhsa_ieee_mode 1
		.amdhsa_fp16_overflow 0
		.amdhsa_exception_fp_ieee_invalid_op 0
		.amdhsa_exception_fp_denorm_src 0
		.amdhsa_exception_fp_ieee_div_zero 0
		.amdhsa_exception_fp_ieee_overflow 0
		.amdhsa_exception_fp_ieee_underflow 0
		.amdhsa_exception_fp_ieee_inexact 0
		.amdhsa_exception_int_div_zero 0
	.end_amdhsa_kernel
	.section	.text._ZN9rocsparseL13gemmit_kernelILj256EfEEviiNS_24const_host_device_scalarIT0_EEPKS2_iPKiS7_S5_S3_PS2_i21rocsparse_index_base_b,"axG",@progbits,_ZN9rocsparseL13gemmit_kernelILj256EfEEviiNS_24const_host_device_scalarIT0_EEPKS2_iPKiS7_S5_S3_PS2_i21rocsparse_index_base_b,comdat
.Lfunc_end0:
	.size	_ZN9rocsparseL13gemmit_kernelILj256EfEEviiNS_24const_host_device_scalarIT0_EEPKS2_iPKiS7_S5_S3_PS2_i21rocsparse_index_base_b, .Lfunc_end0-_ZN9rocsparseL13gemmit_kernelILj256EfEEviiNS_24const_host_device_scalarIT0_EEPKS2_iPKiS7_S5_S3_PS2_i21rocsparse_index_base_b
                                        ; -- End function
	.set _ZN9rocsparseL13gemmit_kernelILj256EfEEviiNS_24const_host_device_scalarIT0_EEPKS2_iPKiS7_S5_S3_PS2_i21rocsparse_index_base_b.num_vgpr, 8
	.set _ZN9rocsparseL13gemmit_kernelILj256EfEEviiNS_24const_host_device_scalarIT0_EEPKS2_iPKiS7_S5_S3_PS2_i21rocsparse_index_base_b.num_agpr, 0
	.set _ZN9rocsparseL13gemmit_kernelILj256EfEEviiNS_24const_host_device_scalarIT0_EEPKS2_iPKiS7_S5_S3_PS2_i21rocsparse_index_base_b.numbered_sgpr, 28
	.set _ZN9rocsparseL13gemmit_kernelILj256EfEEviiNS_24const_host_device_scalarIT0_EEPKS2_iPKiS7_S5_S3_PS2_i21rocsparse_index_base_b.num_named_barrier, 0
	.set _ZN9rocsparseL13gemmit_kernelILj256EfEEviiNS_24const_host_device_scalarIT0_EEPKS2_iPKiS7_S5_S3_PS2_i21rocsparse_index_base_b.private_seg_size, 0
	.set _ZN9rocsparseL13gemmit_kernelILj256EfEEviiNS_24const_host_device_scalarIT0_EEPKS2_iPKiS7_S5_S3_PS2_i21rocsparse_index_base_b.uses_vcc, 1
	.set _ZN9rocsparseL13gemmit_kernelILj256EfEEviiNS_24const_host_device_scalarIT0_EEPKS2_iPKiS7_S5_S3_PS2_i21rocsparse_index_base_b.uses_flat_scratch, 0
	.set _ZN9rocsparseL13gemmit_kernelILj256EfEEviiNS_24const_host_device_scalarIT0_EEPKS2_iPKiS7_S5_S3_PS2_i21rocsparse_index_base_b.has_dyn_sized_stack, 0
	.set _ZN9rocsparseL13gemmit_kernelILj256EfEEviiNS_24const_host_device_scalarIT0_EEPKS2_iPKiS7_S5_S3_PS2_i21rocsparse_index_base_b.has_recursion, 0
	.set _ZN9rocsparseL13gemmit_kernelILj256EfEEviiNS_24const_host_device_scalarIT0_EEPKS2_iPKiS7_S5_S3_PS2_i21rocsparse_index_base_b.has_indirect_call, 0
	.section	.AMDGPU.csdata,"",@progbits
; Kernel info:
; codeLenInByte = 512
; TotalNumSgprs: 32
; NumVgprs: 8
; ScratchSize: 0
; MemoryBound: 0
; FloatMode: 240
; IeeeMode: 1
; LDSByteSize: 0 bytes/workgroup (compile time only)
; SGPRBlocks: 3
; VGPRBlocks: 1
; NumSGPRsForWavesPerEU: 32
; NumVGPRsForWavesPerEU: 8
; Occupancy: 10
; WaveLimiterHint : 1
; COMPUTE_PGM_RSRC2:SCRATCH_EN: 0
; COMPUTE_PGM_RSRC2:USER_SGPR: 6
; COMPUTE_PGM_RSRC2:TRAP_HANDLER: 0
; COMPUTE_PGM_RSRC2:TGID_X_EN: 1
; COMPUTE_PGM_RSRC2:TGID_Y_EN: 1
; COMPUTE_PGM_RSRC2:TGID_Z_EN: 0
; COMPUTE_PGM_RSRC2:TIDIG_COMP_CNT: 0
	.section	.text._ZN9rocsparseL13gemmit_kernelILj256EdEEviiNS_24const_host_device_scalarIT0_EEPKS2_iPKiS7_S5_S3_PS2_i21rocsparse_index_base_b,"axG",@progbits,_ZN9rocsparseL13gemmit_kernelILj256EdEEviiNS_24const_host_device_scalarIT0_EEPKS2_iPKiS7_S5_S3_PS2_i21rocsparse_index_base_b,comdat
	.globl	_ZN9rocsparseL13gemmit_kernelILj256EdEEviiNS_24const_host_device_scalarIT0_EEPKS2_iPKiS7_S5_S3_PS2_i21rocsparse_index_base_b ; -- Begin function _ZN9rocsparseL13gemmit_kernelILj256EdEEviiNS_24const_host_device_scalarIT0_EEPKS2_iPKiS7_S5_S3_PS2_i21rocsparse_index_base_b
	.p2align	8
	.type	_ZN9rocsparseL13gemmit_kernelILj256EdEEviiNS_24const_host_device_scalarIT0_EEPKS2_iPKiS7_S5_S3_PS2_i21rocsparse_index_base_b,@function
_ZN9rocsparseL13gemmit_kernelILj256EdEEviiNS_24const_host_device_scalarIT0_EEPKS2_iPKiS7_S5_S3_PS2_i21rocsparse_index_base_b: ; @_ZN9rocsparseL13gemmit_kernelILj256EdEEviiNS_24const_host_device_scalarIT0_EEPKS2_iPKiS7_S5_S3_PS2_i21rocsparse_index_base_b
; %bb.0:
	s_load_dwordx4 s[8:11], s[4:5], 0x48
	s_load_dwordx2 s[12:13], s[4:5], 0x8
	s_load_dwordx2 s[0:1], s[4:5], 0x38
	s_waitcnt lgkmcnt(0)
	s_bitcmp1_b32 s10, 0
	s_cselect_b64 s[10:11], -1, 0
	v_mov_b32_e32 v1, s12
	s_xor_b64 s[2:3], s[10:11], -1
	s_and_b64 vcc, exec, s[10:11]
	v_mov_b32_e32 v2, s13
	s_cbranch_vccnz .LBB1_2
; %bb.1:
	v_mov_b32_e32 v1, s12
	v_mov_b32_e32 v2, s13
	flat_load_dwordx2 v[1:2], v[1:2]
.LBB1_2:
	v_mov_b32_e32 v4, s1
	s_andn2_b64 vcc, exec, s[2:3]
	v_mov_b32_e32 v3, s0
	s_cbranch_vccnz .LBB1_4
; %bb.3:
	v_mov_b32_e32 v4, s1
	v_mov_b32_e32 v3, s0
	flat_load_dwordx2 v[3:4], v[3:4]
.LBB1_4:
	s_load_dwordx2 s[2:3], s[4:5], 0x0
	v_lshl_or_b32 v5, s6, 8, v0
	s_mov_b32 s6, 0
	s_waitcnt lgkmcnt(0)
	s_cmp_gt_i32 s3, 0
	v_cmp_gt_i32_e32 vcc, s2, v5
	s_cselect_b64 s[0:1], -1, 0
	s_and_b64 s[0:1], vcc, s[0:1]
	s_and_saveexec_b64 s[10:11], s[0:1]
	s_cbranch_execz .LBB1_16
; %bb.5:
	s_waitcnt vmcnt(0)
	v_cmp_eq_f64_e32 vcc, 0, v[3:4]
	v_ashrrev_i32_e32 v6, 31, v5
	s_load_dwordx2 s[0:1], s[4:5], 0x10
	s_load_dwordx4 s[12:15], s[4:5], 0x20
	s_load_dwordx2 s[10:11], s[4:5], 0x30
	s_load_dwordx2 s[16:17], s[4:5], 0x40
	s_load_dword s2, s[4:5], 0x18
	v_lshlrev_b64 v[5:6], 3, v[5:6]
	s_waitcnt lgkmcnt(0)
	v_mov_b32_e32 v7, s1
	v_add_co_u32_e64 v0, s[0:1], s0, v5
	v_addc_co_u32_e64 v7, s[0:1], v7, v6, s[0:1]
	v_mov_b32_e32 v9, s17
	v_add_co_u32_e64 v8, s[0:1], s16, v5
	v_addc_co_u32_e64 v9, s[0:1], v9, v6, s[0:1]
	s_branch .LBB1_8
.LBB1_6:                                ;   in Loop: Header=BB1_8 Depth=1
	s_or_b64 exec, exec, s[16:17]
.LBB1_7:                                ;   in Loop: Header=BB1_8 Depth=1
	s_add_i32 s6, s6, 0xffff
	s_cmp_lt_i32 s6, s3
	s_cbranch_scc0 .LBB1_16
.LBB1_8:                                ; =>This Loop Header: Depth=1
                                        ;     Child Loop BB1_11 Depth 2
	s_add_i32 s4, s6, s7
	s_cmp_ge_i32 s4, s3
	s_cbranch_scc1 .LBB1_7
; %bb.9:                                ;   in Loop: Header=BB1_8 Depth=1
	s_ashr_i32 s5, s4, 31
	s_lshl_b64 s[0:1], s[4:5], 2
	s_add_u32 s16, s12, s0
	s_addc_u32 s17, s13, s1
	s_load_dwordx2 s[0:1], s[16:17], 0x0
	v_mov_b32_e32 v5, 0
	v_mov_b32_e32 v6, 0
	s_waitcnt lgkmcnt(0)
	s_cmp_ge_i32 s0, s1
	s_cbranch_scc1 .LBB1_12
; %bb.10:                               ;   in Loop: Header=BB1_8 Depth=1
	s_sub_i32 s16, s0, s9
	s_ashr_i32 s17, s16, 31
	s_sub_i32 s5, s1, s9
	s_lshl_b64 s[0:1], s[16:17], 2
	s_add_u32 s18, s14, s0
	s_addc_u32 s19, s15, s1
	s_lshl_b64 s[0:1], s[16:17], 3
	s_add_u32 s20, s10, s0
	v_mov_b32_e32 v5, 0
	v_mov_b32_e32 v6, 0
	s_addc_u32 s21, s11, s1
.LBB1_11:                               ;   Parent Loop BB1_8 Depth=1
                                        ; =>  This Inner Loop Header: Depth=2
	s_load_dword s0, s[18:19], 0x0
	s_add_i32 s16, s16, 1
	s_waitcnt lgkmcnt(0)
	s_sub_i32 s0, s0, s9
	s_mul_hi_i32 s1, s0, s2
	s_mul_i32 s0, s0, s2
	s_lshl_b64 s[0:1], s[0:1], 3
	v_mov_b32_e32 v11, s1
	v_add_co_u32_e64 v10, s[0:1], s0, v0
	v_addc_co_u32_e64 v11, s[0:1], v7, v11, s[0:1]
	global_load_dwordx2 v[10:11], v[10:11], off
	s_load_dwordx2 s[0:1], s[20:21], 0x0
	s_add_u32 s18, s18, 4
	s_addc_u32 s19, s19, 0
	s_add_u32 s20, s20, 8
	s_addc_u32 s21, s21, 0
	s_cmp_ge_i32 s16, s5
	s_waitcnt vmcnt(0) lgkmcnt(0)
	v_fma_f64 v[5:6], v[10:11], s[0:1], v[5:6]
	s_cbranch_scc0 .LBB1_11
.LBB1_12:                               ;   in Loop: Header=BB1_8 Depth=1
	v_mul_f64 v[5:6], v[1:2], v[5:6]
	s_mul_hi_i32 s5, s4, s8
	s_mul_i32 s4, s4, s8
	s_and_saveexec_b64 s[0:1], vcc
	s_xor_b64 s[16:17], exec, s[0:1]
	s_cbranch_execz .LBB1_14
; %bb.13:                               ;   in Loop: Header=BB1_8 Depth=1
	s_lshl_b64 s[0:1], s[4:5], 3
	v_mov_b32_e32 v11, s1
	v_add_co_u32_e64 v10, s[0:1], s0, v8
	v_addc_co_u32_e64 v11, s[0:1], v9, v11, s[0:1]
	global_store_dwordx2 v[10:11], v[5:6], off
                                        ; implicit-def: $vgpr5_vgpr6
.LBB1_14:                               ;   in Loop: Header=BB1_8 Depth=1
	s_andn2_saveexec_b64 s[16:17], s[16:17]
	s_cbranch_execz .LBB1_6
; %bb.15:                               ;   in Loop: Header=BB1_8 Depth=1
	s_lshl_b64 s[0:1], s[4:5], 3
	v_mov_b32_e32 v11, s1
	v_add_co_u32_e64 v10, s[0:1], s0, v8
	v_addc_co_u32_e64 v11, s[0:1], v9, v11, s[0:1]
	global_load_dwordx2 v[12:13], v[10:11], off
	s_waitcnt vmcnt(0)
	v_fma_f64 v[5:6], v[3:4], v[12:13], v[5:6]
	global_store_dwordx2 v[10:11], v[5:6], off
	s_branch .LBB1_6
.LBB1_16:
	s_endpgm
	.section	.rodata,"a",@progbits
	.p2align	6, 0x0
	.amdhsa_kernel _ZN9rocsparseL13gemmit_kernelILj256EdEEviiNS_24const_host_device_scalarIT0_EEPKS2_iPKiS7_S5_S3_PS2_i21rocsparse_index_base_b
		.amdhsa_group_segment_fixed_size 0
		.amdhsa_private_segment_fixed_size 0
		.amdhsa_kernarg_size 84
		.amdhsa_user_sgpr_count 6
		.amdhsa_user_sgpr_private_segment_buffer 1
		.amdhsa_user_sgpr_dispatch_ptr 0
		.amdhsa_user_sgpr_queue_ptr 0
		.amdhsa_user_sgpr_kernarg_segment_ptr 1
		.amdhsa_user_sgpr_dispatch_id 0
		.amdhsa_user_sgpr_flat_scratch_init 0
		.amdhsa_user_sgpr_private_segment_size 0
		.amdhsa_uses_dynamic_stack 0
		.amdhsa_system_sgpr_private_segment_wavefront_offset 0
		.amdhsa_system_sgpr_workgroup_id_x 1
		.amdhsa_system_sgpr_workgroup_id_y 1
		.amdhsa_system_sgpr_workgroup_id_z 0
		.amdhsa_system_sgpr_workgroup_info 0
		.amdhsa_system_vgpr_workitem_id 0
		.amdhsa_next_free_vgpr 14
		.amdhsa_next_free_sgpr 22
		.amdhsa_reserve_vcc 1
		.amdhsa_reserve_flat_scratch 0
		.amdhsa_float_round_mode_32 0
		.amdhsa_float_round_mode_16_64 0
		.amdhsa_float_denorm_mode_32 3
		.amdhsa_float_denorm_mode_16_64 3
		.amdhsa_dx10_clamp 1
		.amdhsa_ieee_mode 1
		.amdhsa_fp16_overflow 0
		.amdhsa_exception_fp_ieee_invalid_op 0
		.amdhsa_exception_fp_denorm_src 0
		.amdhsa_exception_fp_ieee_div_zero 0
		.amdhsa_exception_fp_ieee_overflow 0
		.amdhsa_exception_fp_ieee_underflow 0
		.amdhsa_exception_fp_ieee_inexact 0
		.amdhsa_exception_int_div_zero 0
	.end_amdhsa_kernel
	.section	.text._ZN9rocsparseL13gemmit_kernelILj256EdEEviiNS_24const_host_device_scalarIT0_EEPKS2_iPKiS7_S5_S3_PS2_i21rocsparse_index_base_b,"axG",@progbits,_ZN9rocsparseL13gemmit_kernelILj256EdEEviiNS_24const_host_device_scalarIT0_EEPKS2_iPKiS7_S5_S3_PS2_i21rocsparse_index_base_b,comdat
.Lfunc_end1:
	.size	_ZN9rocsparseL13gemmit_kernelILj256EdEEviiNS_24const_host_device_scalarIT0_EEPKS2_iPKiS7_S5_S3_PS2_i21rocsparse_index_base_b, .Lfunc_end1-_ZN9rocsparseL13gemmit_kernelILj256EdEEviiNS_24const_host_device_scalarIT0_EEPKS2_iPKiS7_S5_S3_PS2_i21rocsparse_index_base_b
                                        ; -- End function
	.set _ZN9rocsparseL13gemmit_kernelILj256EdEEviiNS_24const_host_device_scalarIT0_EEPKS2_iPKiS7_S5_S3_PS2_i21rocsparse_index_base_b.num_vgpr, 14
	.set _ZN9rocsparseL13gemmit_kernelILj256EdEEviiNS_24const_host_device_scalarIT0_EEPKS2_iPKiS7_S5_S3_PS2_i21rocsparse_index_base_b.num_agpr, 0
	.set _ZN9rocsparseL13gemmit_kernelILj256EdEEviiNS_24const_host_device_scalarIT0_EEPKS2_iPKiS7_S5_S3_PS2_i21rocsparse_index_base_b.numbered_sgpr, 22
	.set _ZN9rocsparseL13gemmit_kernelILj256EdEEviiNS_24const_host_device_scalarIT0_EEPKS2_iPKiS7_S5_S3_PS2_i21rocsparse_index_base_b.num_named_barrier, 0
	.set _ZN9rocsparseL13gemmit_kernelILj256EdEEviiNS_24const_host_device_scalarIT0_EEPKS2_iPKiS7_S5_S3_PS2_i21rocsparse_index_base_b.private_seg_size, 0
	.set _ZN9rocsparseL13gemmit_kernelILj256EdEEviiNS_24const_host_device_scalarIT0_EEPKS2_iPKiS7_S5_S3_PS2_i21rocsparse_index_base_b.uses_vcc, 1
	.set _ZN9rocsparseL13gemmit_kernelILj256EdEEviiNS_24const_host_device_scalarIT0_EEPKS2_iPKiS7_S5_S3_PS2_i21rocsparse_index_base_b.uses_flat_scratch, 0
	.set _ZN9rocsparseL13gemmit_kernelILj256EdEEviiNS_24const_host_device_scalarIT0_EEPKS2_iPKiS7_S5_S3_PS2_i21rocsparse_index_base_b.has_dyn_sized_stack, 0
	.set _ZN9rocsparseL13gemmit_kernelILj256EdEEviiNS_24const_host_device_scalarIT0_EEPKS2_iPKiS7_S5_S3_PS2_i21rocsparse_index_base_b.has_recursion, 0
	.set _ZN9rocsparseL13gemmit_kernelILj256EdEEviiNS_24const_host_device_scalarIT0_EEPKS2_iPKiS7_S5_S3_PS2_i21rocsparse_index_base_b.has_indirect_call, 0
	.section	.AMDGPU.csdata,"",@progbits
; Kernel info:
; codeLenInByte = 612
; TotalNumSgprs: 26
; NumVgprs: 14
; ScratchSize: 0
; MemoryBound: 0
; FloatMode: 240
; IeeeMode: 1
; LDSByteSize: 0 bytes/workgroup (compile time only)
; SGPRBlocks: 3
; VGPRBlocks: 3
; NumSGPRsForWavesPerEU: 26
; NumVGPRsForWavesPerEU: 14
; Occupancy: 10
; WaveLimiterHint : 1
; COMPUTE_PGM_RSRC2:SCRATCH_EN: 0
; COMPUTE_PGM_RSRC2:USER_SGPR: 6
; COMPUTE_PGM_RSRC2:TRAP_HANDLER: 0
; COMPUTE_PGM_RSRC2:TGID_X_EN: 1
; COMPUTE_PGM_RSRC2:TGID_Y_EN: 1
; COMPUTE_PGM_RSRC2:TGID_Z_EN: 0
; COMPUTE_PGM_RSRC2:TIDIG_COMP_CNT: 0
	.section	.text._ZN9rocsparseL13gemmit_kernelILj256E21rocsparse_complex_numIfEEEviiNS_24const_host_device_scalarIT0_EEPKS4_iPKiS9_S7_S5_PS4_i21rocsparse_index_base_b,"axG",@progbits,_ZN9rocsparseL13gemmit_kernelILj256E21rocsparse_complex_numIfEEEviiNS_24const_host_device_scalarIT0_EEPKS4_iPKiS9_S7_S5_PS4_i21rocsparse_index_base_b,comdat
	.globl	_ZN9rocsparseL13gemmit_kernelILj256E21rocsparse_complex_numIfEEEviiNS_24const_host_device_scalarIT0_EEPKS4_iPKiS9_S7_S5_PS4_i21rocsparse_index_base_b ; -- Begin function _ZN9rocsparseL13gemmit_kernelILj256E21rocsparse_complex_numIfEEEviiNS_24const_host_device_scalarIT0_EEPKS4_iPKiS9_S7_S5_PS4_i21rocsparse_index_base_b
	.p2align	8
	.type	_ZN9rocsparseL13gemmit_kernelILj256E21rocsparse_complex_numIfEEEviiNS_24const_host_device_scalarIT0_EEPKS4_iPKiS9_S7_S5_PS4_i21rocsparse_index_base_b,@function
_ZN9rocsparseL13gemmit_kernelILj256E21rocsparse_complex_numIfEEEviiNS_24const_host_device_scalarIT0_EEPKS4_iPKiS9_S7_S5_PS4_i21rocsparse_index_base_b: ; @_ZN9rocsparseL13gemmit_kernelILj256E21rocsparse_complex_numIfEEEviiNS_24const_host_device_scalarIT0_EEPKS4_iPKiS9_S7_S5_PS4_i21rocsparse_index_base_b
; %bb.0:
	s_load_dwordx4 s[8:11], s[4:5], 0x48
	s_load_dwordx2 s[12:13], s[4:5], 0x8
	s_load_dwordx2 s[14:15], s[4:5], 0x38
	s_waitcnt lgkmcnt(0)
	s_bitcmp1_b32 s10, 0
	s_cselect_b64 s[0:1], -1, 0
	s_xor_b64 s[2:3], s[0:1], -1
	s_and_b64 vcc, exec, s[0:1]
	s_mov_b32 s22, s12
	s_cbranch_vccz .LBB2_17
; %bb.1:
	v_cndmask_b32_e64 v1, 0, 1, s[2:3]
	v_cmp_ne_u32_e64 s[0:1], 1, v1
	s_andn2_b64 vcc, exec, s[2:3]
	s_cbranch_vccz .LBB2_18
.LBB2_2:
	s_and_b64 vcc, exec, s[0:1]
	s_mov_b32 s12, s14
	s_cbranch_vccz .LBB2_19
.LBB2_3:
	s_and_b64 vcc, exec, s[0:1]
	s_cbranch_vccnz .LBB2_5
.LBB2_4:
	s_load_dword s15, s[14:15], 0x4
.LBB2_5:
	s_nop 0
	s_load_dwordx2 s[10:11], s[4:5], 0x0
	v_lshl_or_b32 v0, s6, 8, v0
	s_waitcnt lgkmcnt(0)
	s_cmp_gt_i32 s11, 0
	v_cmp_gt_i32_e32 vcc, s10, v0
	s_cselect_b64 s[0:1], -1, 0
	s_and_b64 s[0:1], vcc, s[0:1]
	s_and_saveexec_b64 s[2:3], s[0:1]
	s_cbranch_execz .LBB2_16
; %bb.6:
	v_ashrrev_i32_e32 v1, 31, v0
	s_load_dwordx2 s[16:17], s[4:5], 0x10
	s_load_dwordx4 s[0:3], s[4:5], 0x20
	s_load_dwordx2 s[18:19], s[4:5], 0x30
	s_load_dwordx2 s[20:21], s[4:5], 0x40
	s_load_dword s6, s[4:5], 0x18
	v_lshlrev_b64 v[0:1], 3, v[0:1]
	s_waitcnt lgkmcnt(0)
	v_mov_b32_e32 v3, s17
	v_add_co_u32_e32 v2, vcc, s16, v0
	v_cmp_eq_f32_e64 s[4:5], s12, 0
	v_cmp_eq_f32_e64 s[16:17], s15, 0
	v_addc_co_u32_e32 v3, vcc, v3, v1, vcc
	s_and_b64 s[4:5], s[4:5], s[16:17]
	v_mov_b32_e32 v5, s21
	v_add_co_u32_e32 v4, vcc, s20, v0
	s_add_u32 s14, s18, 4
	s_mov_b32 s10, 0
	v_addc_co_u32_e32 v5, vcc, v5, v1, vcc
	s_addc_u32 s23, s19, 0
	s_branch .LBB2_8
.LBB2_7:                                ;   in Loop: Header=BB2_8 Depth=1
	s_add_i32 s10, s10, 0xffff
	s_cmp_lt_i32 s10, s11
	s_cbranch_scc0 .LBB2_16
.LBB2_8:                                ; =>This Loop Header: Depth=1
                                        ;     Child Loop BB2_11 Depth 2
	s_add_i32 s16, s10, s7
	s_cmp_ge_i32 s16, s11
	s_cbranch_scc1 .LBB2_7
; %bb.9:                                ;   in Loop: Header=BB2_8 Depth=1
	s_ashr_i32 s17, s16, 31
	s_lshl_b64 s[18:19], s[16:17], 2
	s_add_u32 s20, s0, s18
	s_addc_u32 s21, s1, s19
	s_load_dwordx2 s[18:19], s[20:21], 0x0
	v_mov_b32_e32 v1, 0
	v_mov_b32_e32 v6, 0
	s_waitcnt lgkmcnt(0)
	s_cmp_ge_i32 s18, s19
	s_cbranch_scc1 .LBB2_12
; %bb.10:                               ;   in Loop: Header=BB2_8 Depth=1
	s_sub_i32 s18, s18, s9
	s_sub_i32 s17, s19, s9
	s_ashr_i32 s19, s18, 31
	s_lshl_b64 s[20:21], s[18:19], 2
	s_add_u32 s20, s2, s20
	s_addc_u32 s21, s3, s21
	s_lshl_b64 s[24:25], s[18:19], 3
	s_add_u32 s19, s14, s24
	s_addc_u32 s24, s23, s25
	v_mov_b32_e32 v1, 0
	v_mov_b32_e32 v6, 0
.LBB2_11:                               ;   Parent Loop BB2_8 Depth=1
                                        ; =>  This Inner Loop Header: Depth=2
	s_load_dword s25, s[20:21], 0x0
	s_waitcnt lgkmcnt(0)
	s_sub_i32 s25, s25, s9
	s_add_u32 s26, s19, -4
	s_mul_hi_i32 s29, s25, s6
	s_mul_i32 s28, s25, s6
	s_addc_u32 s27, s24, -1
	s_lshl_b64 s[28:29], s[28:29], 3
	v_mov_b32_e32 v0, s29
	v_add_co_u32_e32 v7, vcc, s28, v2
	v_addc_co_u32_e32 v8, vcc, v3, v0, vcc
	global_load_dwordx2 v[7:8], v[7:8], off
	s_load_dwordx2 s[28:29], s[26:27], 0x0
	s_add_i32 s18, s18, 1
	s_add_u32 s20, s20, 4
	s_addc_u32 s21, s21, 0
	s_add_u32 s19, s19, 8
	s_addc_u32 s24, s24, 0
	s_cmp_ge_i32 s18, s17
	s_waitcnt vmcnt(0) lgkmcnt(0)
	v_fmac_f32_e32 v6, s28, v7
	v_fmac_f32_e32 v1, s28, v8
	v_fma_f32 v6, -v8, s29, v6
	v_fmac_f32_e32 v1, s29, v7
	s_cbranch_scc0 .LBB2_11
.LBB2_12:                               ;   in Loop: Header=BB2_8 Depth=1
	v_mul_f32_e64 v0, v1, -s13
	v_mul_f32_e32 v1, s22, v1
	s_mov_b64 s[18:19], -1
	s_and_b64 vcc, exec, s[4:5]
	v_fmac_f32_e32 v0, s22, v6
	v_fmac_f32_e32 v1, s13, v6
	s_mul_hi_i32 s17, s16, s8
	s_mul_i32 s16, s16, s8
	s_cbranch_vccz .LBB2_14
; %bb.13:                               ;   in Loop: Header=BB2_8 Depth=1
	s_lshl_b64 s[18:19], s[16:17], 3
	v_mov_b32_e32 v7, s19
	v_add_co_u32_e32 v6, vcc, s18, v4
	v_addc_co_u32_e32 v7, vcc, v5, v7, vcc
	global_store_dwordx2 v[6:7], v[0:1], off
	s_mov_b64 s[18:19], 0
.LBB2_14:                               ;   in Loop: Header=BB2_8 Depth=1
	s_andn2_b64 vcc, exec, s[18:19]
	s_cbranch_vccnz .LBB2_7
; %bb.15:                               ;   in Loop: Header=BB2_8 Depth=1
	s_lshl_b64 s[16:17], s[16:17], 3
	v_mov_b32_e32 v7, s17
	v_add_co_u32_e32 v6, vcc, s16, v4
	v_addc_co_u32_e32 v7, vcc, v5, v7, vcc
	global_load_dwordx2 v[8:9], v[6:7], off
	s_waitcnt vmcnt(0)
	v_fmac_f32_e32 v0, s12, v8
	v_fmac_f32_e32 v1, s15, v8
	v_fma_f32 v0, -s15, v9, v0
	v_fmac_f32_e32 v1, s12, v9
	global_store_dwordx2 v[6:7], v[0:1], off
	s_branch .LBB2_7
.LBB2_16:
	s_endpgm
.LBB2_17:
	s_load_dword s22, s[12:13], 0x0
	v_cndmask_b32_e64 v1, 0, 1, s[2:3]
	v_cmp_ne_u32_e64 s[0:1], 1, v1
	s_andn2_b64 vcc, exec, s[2:3]
	s_cbranch_vccnz .LBB2_2
.LBB2_18:
	s_load_dword s13, s[12:13], 0x4
	s_and_b64 vcc, exec, s[0:1]
	s_mov_b32 s12, s14
	s_cbranch_vccnz .LBB2_3
.LBB2_19:
	s_load_dword s12, s[14:15], 0x0
	s_and_b64 vcc, exec, s[0:1]
	s_cbranch_vccz .LBB2_4
	s_branch .LBB2_5
	.section	.rodata,"a",@progbits
	.p2align	6, 0x0
	.amdhsa_kernel _ZN9rocsparseL13gemmit_kernelILj256E21rocsparse_complex_numIfEEEviiNS_24const_host_device_scalarIT0_EEPKS4_iPKiS9_S7_S5_PS4_i21rocsparse_index_base_b
		.amdhsa_group_segment_fixed_size 0
		.amdhsa_private_segment_fixed_size 0
		.amdhsa_kernarg_size 84
		.amdhsa_user_sgpr_count 6
		.amdhsa_user_sgpr_private_segment_buffer 1
		.amdhsa_user_sgpr_dispatch_ptr 0
		.amdhsa_user_sgpr_queue_ptr 0
		.amdhsa_user_sgpr_kernarg_segment_ptr 1
		.amdhsa_user_sgpr_dispatch_id 0
		.amdhsa_user_sgpr_flat_scratch_init 0
		.amdhsa_user_sgpr_private_segment_size 0
		.amdhsa_uses_dynamic_stack 0
		.amdhsa_system_sgpr_private_segment_wavefront_offset 0
		.amdhsa_system_sgpr_workgroup_id_x 1
		.amdhsa_system_sgpr_workgroup_id_y 1
		.amdhsa_system_sgpr_workgroup_id_z 0
		.amdhsa_system_sgpr_workgroup_info 0
		.amdhsa_system_vgpr_workitem_id 0
		.amdhsa_next_free_vgpr 10
		.amdhsa_next_free_sgpr 30
		.amdhsa_reserve_vcc 1
		.amdhsa_reserve_flat_scratch 0
		.amdhsa_float_round_mode_32 0
		.amdhsa_float_round_mode_16_64 0
		.amdhsa_float_denorm_mode_32 3
		.amdhsa_float_denorm_mode_16_64 3
		.amdhsa_dx10_clamp 1
		.amdhsa_ieee_mode 1
		.amdhsa_fp16_overflow 0
		.amdhsa_exception_fp_ieee_invalid_op 0
		.amdhsa_exception_fp_denorm_src 0
		.amdhsa_exception_fp_ieee_div_zero 0
		.amdhsa_exception_fp_ieee_overflow 0
		.amdhsa_exception_fp_ieee_underflow 0
		.amdhsa_exception_fp_ieee_inexact 0
		.amdhsa_exception_int_div_zero 0
	.end_amdhsa_kernel
	.section	.text._ZN9rocsparseL13gemmit_kernelILj256E21rocsparse_complex_numIfEEEviiNS_24const_host_device_scalarIT0_EEPKS4_iPKiS9_S7_S5_PS4_i21rocsparse_index_base_b,"axG",@progbits,_ZN9rocsparseL13gemmit_kernelILj256E21rocsparse_complex_numIfEEEviiNS_24const_host_device_scalarIT0_EEPKS4_iPKiS9_S7_S5_PS4_i21rocsparse_index_base_b,comdat
.Lfunc_end2:
	.size	_ZN9rocsparseL13gemmit_kernelILj256E21rocsparse_complex_numIfEEEviiNS_24const_host_device_scalarIT0_EEPKS4_iPKiS9_S7_S5_PS4_i21rocsparse_index_base_b, .Lfunc_end2-_ZN9rocsparseL13gemmit_kernelILj256E21rocsparse_complex_numIfEEEviiNS_24const_host_device_scalarIT0_EEPKS4_iPKiS9_S7_S5_PS4_i21rocsparse_index_base_b
                                        ; -- End function
	.set _ZN9rocsparseL13gemmit_kernelILj256E21rocsparse_complex_numIfEEEviiNS_24const_host_device_scalarIT0_EEPKS4_iPKiS9_S7_S5_PS4_i21rocsparse_index_base_b.num_vgpr, 10
	.set _ZN9rocsparseL13gemmit_kernelILj256E21rocsparse_complex_numIfEEEviiNS_24const_host_device_scalarIT0_EEPKS4_iPKiS9_S7_S5_PS4_i21rocsparse_index_base_b.num_agpr, 0
	.set _ZN9rocsparseL13gemmit_kernelILj256E21rocsparse_complex_numIfEEEviiNS_24const_host_device_scalarIT0_EEPKS4_iPKiS9_S7_S5_PS4_i21rocsparse_index_base_b.numbered_sgpr, 30
	.set _ZN9rocsparseL13gemmit_kernelILj256E21rocsparse_complex_numIfEEEviiNS_24const_host_device_scalarIT0_EEPKS4_iPKiS9_S7_S5_PS4_i21rocsparse_index_base_b.num_named_barrier, 0
	.set _ZN9rocsparseL13gemmit_kernelILj256E21rocsparse_complex_numIfEEEviiNS_24const_host_device_scalarIT0_EEPKS4_iPKiS9_S7_S5_PS4_i21rocsparse_index_base_b.private_seg_size, 0
	.set _ZN9rocsparseL13gemmit_kernelILj256E21rocsparse_complex_numIfEEEviiNS_24const_host_device_scalarIT0_EEPKS4_iPKiS9_S7_S5_PS4_i21rocsparse_index_base_b.uses_vcc, 1
	.set _ZN9rocsparseL13gemmit_kernelILj256E21rocsparse_complex_numIfEEEviiNS_24const_host_device_scalarIT0_EEPKS4_iPKiS9_S7_S5_PS4_i21rocsparse_index_base_b.uses_flat_scratch, 0
	.set _ZN9rocsparseL13gemmit_kernelILj256E21rocsparse_complex_numIfEEEviiNS_24const_host_device_scalarIT0_EEPKS4_iPKiS9_S7_S5_PS4_i21rocsparse_index_base_b.has_dyn_sized_stack, 0
	.set _ZN9rocsparseL13gemmit_kernelILj256E21rocsparse_complex_numIfEEEviiNS_24const_host_device_scalarIT0_EEPKS4_iPKiS9_S7_S5_PS4_i21rocsparse_index_base_b.has_recursion, 0
	.set _ZN9rocsparseL13gemmit_kernelILj256E21rocsparse_complex_numIfEEEviiNS_24const_host_device_scalarIT0_EEPKS4_iPKiS9_S7_S5_PS4_i21rocsparse_index_base_b.has_indirect_call, 0
	.section	.AMDGPU.csdata,"",@progbits
; Kernel info:
; codeLenInByte = 712
; TotalNumSgprs: 34
; NumVgprs: 10
; ScratchSize: 0
; MemoryBound: 0
; FloatMode: 240
; IeeeMode: 1
; LDSByteSize: 0 bytes/workgroup (compile time only)
; SGPRBlocks: 4
; VGPRBlocks: 2
; NumSGPRsForWavesPerEU: 34
; NumVGPRsForWavesPerEU: 10
; Occupancy: 10
; WaveLimiterHint : 1
; COMPUTE_PGM_RSRC2:SCRATCH_EN: 0
; COMPUTE_PGM_RSRC2:USER_SGPR: 6
; COMPUTE_PGM_RSRC2:TRAP_HANDLER: 0
; COMPUTE_PGM_RSRC2:TGID_X_EN: 1
; COMPUTE_PGM_RSRC2:TGID_Y_EN: 1
; COMPUTE_PGM_RSRC2:TGID_Z_EN: 0
; COMPUTE_PGM_RSRC2:TIDIG_COMP_CNT: 0
	.section	.text._ZN9rocsparseL13gemmit_kernelILj256E21rocsparse_complex_numIdEEEviiNS_24const_host_device_scalarIT0_EEPKS4_iPKiS9_S7_S5_PS4_i21rocsparse_index_base_b,"axG",@progbits,_ZN9rocsparseL13gemmit_kernelILj256E21rocsparse_complex_numIdEEEviiNS_24const_host_device_scalarIT0_EEPKS4_iPKiS9_S7_S5_PS4_i21rocsparse_index_base_b,comdat
	.globl	_ZN9rocsparseL13gemmit_kernelILj256E21rocsparse_complex_numIdEEEviiNS_24const_host_device_scalarIT0_EEPKS4_iPKiS9_S7_S5_PS4_i21rocsparse_index_base_b ; -- Begin function _ZN9rocsparseL13gemmit_kernelILj256E21rocsparse_complex_numIdEEEviiNS_24const_host_device_scalarIT0_EEPKS4_iPKiS9_S7_S5_PS4_i21rocsparse_index_base_b
	.p2align	8
	.type	_ZN9rocsparseL13gemmit_kernelILj256E21rocsparse_complex_numIdEEEviiNS_24const_host_device_scalarIT0_EEPKS4_iPKiS9_S7_S5_PS4_i21rocsparse_index_base_b,@function
_ZN9rocsparseL13gemmit_kernelILj256E21rocsparse_complex_numIdEEEviiNS_24const_host_device_scalarIT0_EEPKS4_iPKiS9_S7_S5_PS4_i21rocsparse_index_base_b: ; @_ZN9rocsparseL13gemmit_kernelILj256E21rocsparse_complex_numIdEEEviiNS_24const_host_device_scalarIT0_EEPKS4_iPKiS9_S7_S5_PS4_i21rocsparse_index_base_b
; %bb.0:
	s_add_u32 flat_scratch_lo, s6, s10
	s_load_dwordx4 s[20:23], s[4:5], 0x58
	s_load_dwordx4 s[12:15], s[4:5], 0x8
	s_addc_u32 flat_scratch_hi, s7, 0
	s_add_u32 s0, s0, s10
	s_addc_u32 s1, s1, 0
	s_waitcnt lgkmcnt(0)
	s_bitcmp1_b32 s22, 0
	s_cselect_b64 s[6:7], -1, 0
	s_mov_b64 s[10:11], src_private_base
	v_mov_b32_e32 v1, s13
	s_and_b64 vcc, s[6:7], exec
	buffer_store_dword v1, off, s[0:3], 0 offset:4
	v_mov_b32_e32 v1, s12
	s_cselect_b32 s10, s11, s13
	s_cselect_b32 s11, 0, s12
	buffer_store_dword v1, off, s[0:3], 0
	v_mov_b32_e32 v1, s11
	v_mov_b32_e32 v2, s10
	flat_load_dwordx2 v[8:9], v[1:2]
	v_mov_b32_e32 v10, s14
	v_mov_b32_e32 v11, s15
	s_cbranch_vccnz .LBB3_2
; %bb.1:
	v_mov_b32_e32 v1, s12
	v_mov_b32_e32 v2, s13
	flat_load_dwordx2 v[10:11], v[1:2] offset:8
.LBB3_2:
	s_load_dwordx2 s[10:11], s[4:5], 0x0
	v_lshl_or_b32 v4, s8, 8, v0
	s_mov_b32 s8, 0
	s_waitcnt lgkmcnt(0)
	s_cmp_gt_i32 s11, 0
	v_cmp_gt_i32_e32 vcc, s10, v4
	s_cselect_b64 s[12:13], -1, 0
	s_and_b64 s[12:13], vcc, s[12:13]
	s_and_saveexec_b64 s[14:15], s[12:13]
	s_cbranch_execz .LBB3_14
; %bb.3:
	s_load_dwordx8 s[12:19], s[4:5], 0x28
	s_add_u32 s10, s4, 64
	s_addc_u32 s22, s5, 0
	s_and_b64 s[6:7], s[6:7], exec
	v_ashrrev_i32_e32 v5, 31, v4
	s_waitcnt lgkmcnt(0)
	s_cselect_b32 s6, s22, s19
	s_cselect_b32 s7, s10, s18
	v_mov_b32_e32 v0, s7
	v_mov_b32_e32 v1, s6
	flat_load_dwordx4 v[0:3], v[0:1]
	s_load_dwordx2 s[18:19], s[4:5], 0x50
	s_load_dwordx2 s[6:7], s[4:5], 0x18
	s_load_dword s10, s[4:5], 0x20
	v_lshlrev_b64 v[4:5], 4, v[4:5]
	s_waitcnt lgkmcnt(0)
	v_mov_b32_e32 v7, s19
	v_mov_b32_e32 v6, s7
	v_add_co_u32_e64 v12, s[6:7], s6, v4
	v_addc_co_u32_e64 v13, s[6:7], v6, v5, s[6:7]
	s_waitcnt vmcnt(0)
	v_cmp_eq_f64_e32 vcc, 0, v[0:1]
	v_cmp_eq_f64_e64 s[4:5], 0, v[2:3]
	s_and_b64 s[4:5], vcc, s[4:5]
	v_add_co_u32_e32 v14, vcc, s18, v4
	s_add_u32 s22, s16, 8
	v_addc_co_u32_e32 v15, vcc, v7, v5, vcc
	s_addc_u32 s23, s17, 0
	s_branch .LBB3_6
.LBB3_4:                                ;   in Loop: Header=BB3_6 Depth=1
	s_or_b64 exec, exec, s[16:17]
.LBB3_5:                                ;   in Loop: Header=BB3_6 Depth=1
	s_add_i32 s8, s8, 0xffff
	s_cmp_lt_i32 s8, s11
	s_cbranch_scc0 .LBB3_14
.LBB3_6:                                ; =>This Loop Header: Depth=1
                                        ;     Child Loop BB3_9 Depth 2
	s_add_i32 s6, s8, s9
	s_cmp_ge_i32 s6, s11
	s_cbranch_scc1 .LBB3_5
; %bb.7:                                ;   in Loop: Header=BB3_6 Depth=1
	s_ashr_i32 s7, s6, 31
	s_lshl_b64 s[16:17], s[6:7], 2
	s_add_u32 s18, s12, s16
	s_addc_u32 s19, s13, s17
	s_load_dwordx2 s[16:17], s[18:19], 0x0
	v_mov_b32_e32 v4, 0
	v_mov_b32_e32 v6, 0
	;; [unrolled: 1-line block ×4, first 2 shown]
	s_waitcnt lgkmcnt(0)
	s_cmp_ge_i32 s16, s17
	s_cbranch_scc1 .LBB3_10
; %bb.8:                                ;   in Loop: Header=BB3_6 Depth=1
	s_sub_i32 s16, s16, s21
	s_sub_i32 s7, s17, s21
	s_ashr_i32 s17, s16, 31
	s_lshl_b64 s[18:19], s[16:17], 2
	s_add_u32 s18, s14, s18
	s_addc_u32 s19, s15, s19
	s_lshl_b64 s[24:25], s[16:17], 4
	s_add_u32 s17, s22, s24
	v_mov_b32_e32 v4, 0
	v_mov_b32_e32 v6, 0
	;; [unrolled: 1-line block ×4, first 2 shown]
	s_addc_u32 s24, s23, s25
.LBB3_9:                                ;   Parent Loop BB3_6 Depth=1
                                        ; =>  This Inner Loop Header: Depth=2
	s_load_dword s25, s[18:19], 0x0
	s_waitcnt lgkmcnt(0)
	s_sub_i32 s25, s25, s21
	s_add_u32 s26, s17, -8
	s_mul_hi_i32 s29, s25, s10
	s_mul_i32 s28, s25, s10
	s_addc_u32 s27, s24, -1
	s_lshl_b64 s[28:29], s[28:29], 4
	v_mov_b32_e32 v17, s29
	v_add_co_u32_e32 v16, vcc, s28, v12
	v_addc_co_u32_e32 v17, vcc, v13, v17, vcc
	global_load_dwordx4 v[16:19], v[16:17], off
	s_load_dwordx4 s[28:31], s[26:27], 0x0
	s_add_i32 s16, s16, 1
	s_add_u32 s18, s18, 4
	s_addc_u32 s19, s19, 0
	s_add_u32 s17, s17, 16
	s_addc_u32 s24, s24, 0
	s_cmp_ge_i32 s16, s7
	s_waitcnt vmcnt(0) lgkmcnt(0)
	v_fma_f64 v[6:7], v[16:17], s[28:29], v[6:7]
	v_fma_f64 v[4:5], v[18:19], s[28:29], v[4:5]
	v_fma_f64 v[6:7], -v[18:19], s[30:31], v[6:7]
	v_fma_f64 v[4:5], v[16:17], s[30:31], v[4:5]
	s_cbranch_scc0 .LBB3_9
.LBB3_10:                               ;   in Loop: Header=BB3_6 Depth=1
	v_mul_f64 v[16:17], v[4:5], -v[10:11]
	v_mul_f64 v[18:19], v[8:9], v[4:5]
	s_mul_hi_i32 s7, s6, s20
	s_mul_i32 s6, s6, s20
	v_fma_f64 v[4:5], v[8:9], v[6:7], v[16:17]
	v_fma_f64 v[6:7], v[10:11], v[6:7], v[18:19]
	s_and_saveexec_b64 s[16:17], s[4:5]
	s_xor_b64 s[16:17], exec, s[16:17]
	s_cbranch_execz .LBB3_12
; %bb.11:                               ;   in Loop: Header=BB3_6 Depth=1
	s_lshl_b64 s[18:19], s[6:7], 4
	v_mov_b32_e32 v17, s19
	v_add_co_u32_e32 v16, vcc, s18, v14
	v_addc_co_u32_e32 v17, vcc, v15, v17, vcc
	global_store_dwordx4 v[16:17], v[4:7], off
                                        ; implicit-def: $vgpr4_vgpr5
.LBB3_12:                               ;   in Loop: Header=BB3_6 Depth=1
	s_andn2_saveexec_b64 s[16:17], s[16:17]
	s_cbranch_execz .LBB3_4
; %bb.13:                               ;   in Loop: Header=BB3_6 Depth=1
	s_lshl_b64 s[6:7], s[6:7], 4
	v_mov_b32_e32 v16, s7
	v_add_co_u32_e32 v20, vcc, s6, v14
	v_addc_co_u32_e32 v21, vcc, v15, v16, vcc
	global_load_dwordx4 v[16:19], v[20:21], off
	s_waitcnt vmcnt(0)
	v_fma_f64 v[4:5], v[0:1], v[16:17], v[4:5]
	v_fma_f64 v[6:7], v[2:3], v[16:17], v[6:7]
	v_fma_f64 v[4:5], -v[2:3], v[18:19], v[4:5]
	v_fma_f64 v[6:7], v[0:1], v[18:19], v[6:7]
	global_store_dwordx4 v[20:21], v[4:7], off
	s_branch .LBB3_4
.LBB3_14:
	s_endpgm
	.section	.rodata,"a",@progbits
	.p2align	6, 0x0
	.amdhsa_kernel _ZN9rocsparseL13gemmit_kernelILj256E21rocsparse_complex_numIdEEEviiNS_24const_host_device_scalarIT0_EEPKS4_iPKiS9_S7_S5_PS4_i21rocsparse_index_base_b
		.amdhsa_group_segment_fixed_size 0
		.amdhsa_private_segment_fixed_size 16
		.amdhsa_kernarg_size 100
		.amdhsa_user_sgpr_count 8
		.amdhsa_user_sgpr_private_segment_buffer 1
		.amdhsa_user_sgpr_dispatch_ptr 0
		.amdhsa_user_sgpr_queue_ptr 0
		.amdhsa_user_sgpr_kernarg_segment_ptr 1
		.amdhsa_user_sgpr_dispatch_id 0
		.amdhsa_user_sgpr_flat_scratch_init 1
		.amdhsa_user_sgpr_private_segment_size 0
		.amdhsa_uses_dynamic_stack 0
		.amdhsa_system_sgpr_private_segment_wavefront_offset 1
		.amdhsa_system_sgpr_workgroup_id_x 1
		.amdhsa_system_sgpr_workgroup_id_y 1
		.amdhsa_system_sgpr_workgroup_id_z 0
		.amdhsa_system_sgpr_workgroup_info 0
		.amdhsa_system_vgpr_workitem_id 0
		.amdhsa_next_free_vgpr 22
		.amdhsa_next_free_sgpr 32
		.amdhsa_reserve_vcc 1
		.amdhsa_reserve_flat_scratch 1
		.amdhsa_float_round_mode_32 0
		.amdhsa_float_round_mode_16_64 0
		.amdhsa_float_denorm_mode_32 3
		.amdhsa_float_denorm_mode_16_64 3
		.amdhsa_dx10_clamp 1
		.amdhsa_ieee_mode 1
		.amdhsa_fp16_overflow 0
		.amdhsa_exception_fp_ieee_invalid_op 0
		.amdhsa_exception_fp_denorm_src 0
		.amdhsa_exception_fp_ieee_div_zero 0
		.amdhsa_exception_fp_ieee_overflow 0
		.amdhsa_exception_fp_ieee_underflow 0
		.amdhsa_exception_fp_ieee_inexact 0
		.amdhsa_exception_int_div_zero 0
	.end_amdhsa_kernel
	.section	.text._ZN9rocsparseL13gemmit_kernelILj256E21rocsparse_complex_numIdEEEviiNS_24const_host_device_scalarIT0_EEPKS4_iPKiS9_S7_S5_PS4_i21rocsparse_index_base_b,"axG",@progbits,_ZN9rocsparseL13gemmit_kernelILj256E21rocsparse_complex_numIdEEEviiNS_24const_host_device_scalarIT0_EEPKS4_iPKiS9_S7_S5_PS4_i21rocsparse_index_base_b,comdat
.Lfunc_end3:
	.size	_ZN9rocsparseL13gemmit_kernelILj256E21rocsparse_complex_numIdEEEviiNS_24const_host_device_scalarIT0_EEPKS4_iPKiS9_S7_S5_PS4_i21rocsparse_index_base_b, .Lfunc_end3-_ZN9rocsparseL13gemmit_kernelILj256E21rocsparse_complex_numIdEEEviiNS_24const_host_device_scalarIT0_EEPKS4_iPKiS9_S7_S5_PS4_i21rocsparse_index_base_b
                                        ; -- End function
	.set _ZN9rocsparseL13gemmit_kernelILj256E21rocsparse_complex_numIdEEEviiNS_24const_host_device_scalarIT0_EEPKS4_iPKiS9_S7_S5_PS4_i21rocsparse_index_base_b.num_vgpr, 22
	.set _ZN9rocsparseL13gemmit_kernelILj256E21rocsparse_complex_numIdEEEviiNS_24const_host_device_scalarIT0_EEPKS4_iPKiS9_S7_S5_PS4_i21rocsparse_index_base_b.num_agpr, 0
	.set _ZN9rocsparseL13gemmit_kernelILj256E21rocsparse_complex_numIdEEEviiNS_24const_host_device_scalarIT0_EEPKS4_iPKiS9_S7_S5_PS4_i21rocsparse_index_base_b.numbered_sgpr, 32
	.set _ZN9rocsparseL13gemmit_kernelILj256E21rocsparse_complex_numIdEEEviiNS_24const_host_device_scalarIT0_EEPKS4_iPKiS9_S7_S5_PS4_i21rocsparse_index_base_b.num_named_barrier, 0
	.set _ZN9rocsparseL13gemmit_kernelILj256E21rocsparse_complex_numIdEEEviiNS_24const_host_device_scalarIT0_EEPKS4_iPKiS9_S7_S5_PS4_i21rocsparse_index_base_b.private_seg_size, 16
	.set _ZN9rocsparseL13gemmit_kernelILj256E21rocsparse_complex_numIdEEEviiNS_24const_host_device_scalarIT0_EEPKS4_iPKiS9_S7_S5_PS4_i21rocsparse_index_base_b.uses_vcc, 1
	.set _ZN9rocsparseL13gemmit_kernelILj256E21rocsparse_complex_numIdEEEviiNS_24const_host_device_scalarIT0_EEPKS4_iPKiS9_S7_S5_PS4_i21rocsparse_index_base_b.uses_flat_scratch, 1
	.set _ZN9rocsparseL13gemmit_kernelILj256E21rocsparse_complex_numIdEEEviiNS_24const_host_device_scalarIT0_EEPKS4_iPKiS9_S7_S5_PS4_i21rocsparse_index_base_b.has_dyn_sized_stack, 0
	.set _ZN9rocsparseL13gemmit_kernelILj256E21rocsparse_complex_numIdEEEviiNS_24const_host_device_scalarIT0_EEPKS4_iPKiS9_S7_S5_PS4_i21rocsparse_index_base_b.has_recursion, 0
	.set _ZN9rocsparseL13gemmit_kernelILj256E21rocsparse_complex_numIdEEEviiNS_24const_host_device_scalarIT0_EEPKS4_iPKiS9_S7_S5_PS4_i21rocsparse_index_base_b.has_indirect_call, 0
	.section	.AMDGPU.csdata,"",@progbits
; Kernel info:
; codeLenInByte = 752
; TotalNumSgprs: 38
; NumVgprs: 22
; ScratchSize: 16
; MemoryBound: 0
; FloatMode: 240
; IeeeMode: 1
; LDSByteSize: 0 bytes/workgroup (compile time only)
; SGPRBlocks: 4
; VGPRBlocks: 5
; NumSGPRsForWavesPerEU: 38
; NumVGPRsForWavesPerEU: 22
; Occupancy: 10
; WaveLimiterHint : 1
; COMPUTE_PGM_RSRC2:SCRATCH_EN: 1
; COMPUTE_PGM_RSRC2:USER_SGPR: 8
; COMPUTE_PGM_RSRC2:TRAP_HANDLER: 0
; COMPUTE_PGM_RSRC2:TGID_X_EN: 1
; COMPUTE_PGM_RSRC2:TGID_Y_EN: 1
; COMPUTE_PGM_RSRC2:TGID_Z_EN: 0
; COMPUTE_PGM_RSRC2:TIDIG_COMP_CNT: 0
	.section	.AMDGPU.gpr_maximums,"",@progbits
	.set amdgpu.max_num_vgpr, 0
	.set amdgpu.max_num_agpr, 0
	.set amdgpu.max_num_sgpr, 0
	.section	.AMDGPU.csdata,"",@progbits
	.type	__hip_cuid_69e74c921b1ed53b,@object ; @__hip_cuid_69e74c921b1ed53b
	.section	.bss,"aw",@nobits
	.globl	__hip_cuid_69e74c921b1ed53b
__hip_cuid_69e74c921b1ed53b:
	.byte	0                               ; 0x0
	.size	__hip_cuid_69e74c921b1ed53b, 1

	.ident	"AMD clang version 22.0.0git (https://github.com/RadeonOpenCompute/llvm-project roc-7.2.4 26084 f58b06dce1f9c15707c5f808fd002e18c2accf7e)"
	.section	".note.GNU-stack","",@progbits
	.addrsig
	.addrsig_sym __hip_cuid_69e74c921b1ed53b
	.amdgpu_metadata
---
amdhsa.kernels:
  - .args:
      - .offset:         0
        .size:           4
        .value_kind:     by_value
      - .offset:         4
        .size:           4
        .value_kind:     by_value
      - .offset:         8
        .size:           8
        .value_kind:     by_value
      - .actual_access:  read_only
        .address_space:  global
        .offset:         16
        .size:           8
        .value_kind:     global_buffer
      - .offset:         24
        .size:           4
        .value_kind:     by_value
      - .actual_access:  read_only
        .address_space:  global
        .offset:         32
        .size:           8
        .value_kind:     global_buffer
      - .actual_access:  read_only
        .address_space:  global
        .offset:         40
        .size:           8
        .value_kind:     global_buffer
      - .actual_access:  read_only
        .address_space:  global
        .offset:         48
        .size:           8
        .value_kind:     global_buffer
      - .offset:         56
        .size:           8
        .value_kind:     by_value
      - .address_space:  global
        .offset:         64
        .size:           8
        .value_kind:     global_buffer
      - .offset:         72
        .size:           4
        .value_kind:     by_value
      - .offset:         76
        .size:           4
        .value_kind:     by_value
      - .offset:         80
        .size:           1
        .value_kind:     by_value
    .group_segment_fixed_size: 0
    .kernarg_segment_align: 8
    .kernarg_segment_size: 84
    .language:       OpenCL C
    .language_version:
      - 2
      - 0
    .max_flat_workgroup_size: 256
    .name:           _ZN9rocsparseL13gemmit_kernelILj256EfEEviiNS_24const_host_device_scalarIT0_EEPKS2_iPKiS7_S5_S3_PS2_i21rocsparse_index_base_b
    .private_segment_fixed_size: 0
    .sgpr_count:     32
    .sgpr_spill_count: 0
    .symbol:         _ZN9rocsparseL13gemmit_kernelILj256EfEEviiNS_24const_host_device_scalarIT0_EEPKS2_iPKiS7_S5_S3_PS2_i21rocsparse_index_base_b.kd
    .uniform_work_group_size: 1
    .uses_dynamic_stack: false
    .vgpr_count:     8
    .vgpr_spill_count: 0
    .wavefront_size: 64
  - .args:
      - .offset:         0
        .size:           4
        .value_kind:     by_value
      - .offset:         4
        .size:           4
        .value_kind:     by_value
      - .offset:         8
        .size:           8
        .value_kind:     by_value
      - .actual_access:  read_only
        .address_space:  global
        .offset:         16
        .size:           8
        .value_kind:     global_buffer
      - .offset:         24
        .size:           4
        .value_kind:     by_value
      - .actual_access:  read_only
        .address_space:  global
        .offset:         32
        .size:           8
        .value_kind:     global_buffer
      - .actual_access:  read_only
        .address_space:  global
        .offset:         40
        .size:           8
        .value_kind:     global_buffer
      - .actual_access:  read_only
        .address_space:  global
        .offset:         48
        .size:           8
        .value_kind:     global_buffer
      - .offset:         56
        .size:           8
        .value_kind:     by_value
      - .address_space:  global
        .offset:         64
        .size:           8
        .value_kind:     global_buffer
      - .offset:         72
        .size:           4
        .value_kind:     by_value
      - .offset:         76
        .size:           4
        .value_kind:     by_value
      - .offset:         80
        .size:           1
        .value_kind:     by_value
    .group_segment_fixed_size: 0
    .kernarg_segment_align: 8
    .kernarg_segment_size: 84
    .language:       OpenCL C
    .language_version:
      - 2
      - 0
    .max_flat_workgroup_size: 256
    .name:           _ZN9rocsparseL13gemmit_kernelILj256EdEEviiNS_24const_host_device_scalarIT0_EEPKS2_iPKiS7_S5_S3_PS2_i21rocsparse_index_base_b
    .private_segment_fixed_size: 0
    .sgpr_count:     26
    .sgpr_spill_count: 0
    .symbol:         _ZN9rocsparseL13gemmit_kernelILj256EdEEviiNS_24const_host_device_scalarIT0_EEPKS2_iPKiS7_S5_S3_PS2_i21rocsparse_index_base_b.kd
    .uniform_work_group_size: 1
    .uses_dynamic_stack: false
    .vgpr_count:     14
    .vgpr_spill_count: 0
    .wavefront_size: 64
  - .args:
      - .offset:         0
        .size:           4
        .value_kind:     by_value
      - .offset:         4
        .size:           4
        .value_kind:     by_value
      - .offset:         8
        .size:           8
        .value_kind:     by_value
      - .actual_access:  read_only
        .address_space:  global
        .offset:         16
        .size:           8
        .value_kind:     global_buffer
      - .offset:         24
        .size:           4
        .value_kind:     by_value
      - .actual_access:  read_only
        .address_space:  global
        .offset:         32
        .size:           8
        .value_kind:     global_buffer
      - .actual_access:  read_only
        .address_space:  global
        .offset:         40
        .size:           8
        .value_kind:     global_buffer
      - .actual_access:  read_only
        .address_space:  global
        .offset:         48
        .size:           8
        .value_kind:     global_buffer
      - .offset:         56
        .size:           8
        .value_kind:     by_value
      - .address_space:  global
        .offset:         64
        .size:           8
        .value_kind:     global_buffer
      - .offset:         72
        .size:           4
        .value_kind:     by_value
      - .offset:         76
        .size:           4
        .value_kind:     by_value
      - .offset:         80
        .size:           1
        .value_kind:     by_value
    .group_segment_fixed_size: 0
    .kernarg_segment_align: 8
    .kernarg_segment_size: 84
    .language:       OpenCL C
    .language_version:
      - 2
      - 0
    .max_flat_workgroup_size: 256
    .name:           _ZN9rocsparseL13gemmit_kernelILj256E21rocsparse_complex_numIfEEEviiNS_24const_host_device_scalarIT0_EEPKS4_iPKiS9_S7_S5_PS4_i21rocsparse_index_base_b
    .private_segment_fixed_size: 0
    .sgpr_count:     34
    .sgpr_spill_count: 0
    .symbol:         _ZN9rocsparseL13gemmit_kernelILj256E21rocsparse_complex_numIfEEEviiNS_24const_host_device_scalarIT0_EEPKS4_iPKiS9_S7_S5_PS4_i21rocsparse_index_base_b.kd
    .uniform_work_group_size: 1
    .uses_dynamic_stack: false
    .vgpr_count:     10
    .vgpr_spill_count: 0
    .wavefront_size: 64
  - .args:
      - .offset:         0
        .size:           4
        .value_kind:     by_value
      - .offset:         4
        .size:           4
        .value_kind:     by_value
      - .offset:         8
        .size:           16
        .value_kind:     by_value
      - .actual_access:  read_only
        .address_space:  global
        .offset:         24
        .size:           8
        .value_kind:     global_buffer
      - .offset:         32
        .size:           4
        .value_kind:     by_value
      - .actual_access:  read_only
        .address_space:  global
        .offset:         40
        .size:           8
        .value_kind:     global_buffer
      - .actual_access:  read_only
        .address_space:  global
        .offset:         48
        .size:           8
        .value_kind:     global_buffer
      - .actual_access:  read_only
        .address_space:  global
        .offset:         56
        .size:           8
        .value_kind:     global_buffer
      - .offset:         64
        .size:           16
        .value_kind:     by_value
      - .address_space:  global
        .offset:         80
        .size:           8
        .value_kind:     global_buffer
      - .offset:         88
        .size:           4
        .value_kind:     by_value
      - .offset:         92
        .size:           4
        .value_kind:     by_value
      - .offset:         96
        .size:           1
        .value_kind:     by_value
    .group_segment_fixed_size: 0
    .kernarg_segment_align: 8
    .kernarg_segment_size: 100
    .language:       OpenCL C
    .language_version:
      - 2
      - 0
    .max_flat_workgroup_size: 256
    .name:           _ZN9rocsparseL13gemmit_kernelILj256E21rocsparse_complex_numIdEEEviiNS_24const_host_device_scalarIT0_EEPKS4_iPKiS9_S7_S5_PS4_i21rocsparse_index_base_b
    .private_segment_fixed_size: 16
    .sgpr_count:     38
    .sgpr_spill_count: 0
    .symbol:         _ZN9rocsparseL13gemmit_kernelILj256E21rocsparse_complex_numIdEEEviiNS_24const_host_device_scalarIT0_EEPKS4_iPKiS9_S7_S5_PS4_i21rocsparse_index_base_b.kd
    .uniform_work_group_size: 1
    .uses_dynamic_stack: false
    .vgpr_count:     22
    .vgpr_spill_count: 0
    .wavefront_size: 64
amdhsa.target:   amdgcn-amd-amdhsa--gfx906
amdhsa.version:
  - 1
  - 2
...

	.end_amdgpu_metadata
